;; amdgpu-corpus repo=zjin-lcf/HeCBench kind=compiled arch=gfx1030 opt=O3
	.amdgcn_target "amdgcn-amd-amdhsa--gfx1030"
	.amdhsa_code_object_version 6
	.text
	.protected	_Z13parallelMatchPcPKjiS_S1_PhP5State ; -- Begin function _Z13parallelMatchPcPKjiS_S1_PhP5State
	.globl	_Z13parallelMatchPcPKjiS_S1_PhP5State
	.p2align	8
	.type	_Z13parallelMatchPcPKjiS_S1_PhP5State,@function
_Z13parallelMatchPcPKjiS_S1_PhP5State:  ; @_Z13parallelMatchPcPKjiS_S1_PhP5State
; %bb.0:
	s_load_dwordx8 s[8:15], s[4:5], 0x18
	s_add_u32 s0, s0, s7
	s_addc_u32 s1, s1, 0
	s_mov_b32 s18, exec_lo
	v_cmpx_eq_u32_e32 0, v0
	s_cbranch_execz .LBB0_151
; %bb.1:
	s_waitcnt lgkmcnt(0)
	s_load_dword s7, s[10:11], 0x0
	s_waitcnt lgkmcnt(0)
	v_mov_b32_e32 v1, s7
	global_load_ubyte v2, v1, s[8:9]
	v_mov_b32_e32 v1, 0
	s_add_u32 s8, s8, s7
	s_addc_u32 s9, s9, 0
	s_waitcnt vmcnt(0)
	v_cmp_eq_u32_sdwa s10, v2, v1 src0_sel:WORD_0 src1_sel:DWORD
	v_readfirstlane_b32 s16, v2
	s_and_b32 vcc_lo, exec_lo, s10
	s_cbranch_vccnz .LBB0_58
; %bb.2:
	s_mov_b64 s[10:11], 1
.LBB0_3:                                ; =>This Inner Loop Header: Depth=1
	s_add_u32 s20, s8, s10
	s_addc_u32 s21, s9, s11
	s_add_u32 s10, s10, 1
	global_load_ubyte v2, v1, s[20:21]
	s_addc_u32 s11, s11, 0
	s_waitcnt vmcnt(0)
	v_cmp_ne_u32_e32 vcc_lo, 0, v2
	s_cbranch_vccnz .LBB0_3
; %bb.4:
	s_add_i32 s7, s10, -2
	s_cmpk_lt_u32 s7, 0xf9f
	s_cselect_b32 s7, -1, 0
	s_and_b32 vcc_lo, exec_lo, s7
	s_cbranch_vccnz .LBB0_59
.LBB0_5:
	s_mov_b32 s8, 0
	s_mov_b32 s20, 0
	s_mov_b32 vcc_lo, 0
	s_cbranch_vccnz .LBB0_149
.LBB0_6:
	v_mov_b32_e32 v1, 0
	v_mov_b32_e32 v15, 3
	v_bfrev_b32_e32 v3, 4.0
	v_mov_b32_e32 v5, 0x101
	s_mov_b32 s11, 16
	s_mov_b32 s19, 0
	s_branch .LBB0_8
.LBB0_7:                                ;   in Loop: Header=BB0_8 Depth=1
	s_andn2_b32 vcc_lo, exec_lo, s9
	s_cbranch_vccz .LBB0_53
.LBB0_8:                                ; =>This Loop Header: Depth=1
                                        ;     Child Loop BB0_14 Depth 2
                                        ;     Child Loop BB0_33 Depth 2
	;; [unrolled: 1-line block ×5, first 2 shown]
	v_mov_b32_e32 v2, s19
	s_mov_b32 s7, s11
	ds_read_u8 v10, v2
	s_waitcnt lgkmcnt(0)
	v_cmp_lt_i32_sdwa s9, v10, v15 src0_sel:WORD_0 src1_sel:DWORD
	v_readfirstlane_b32 s21, v10
	s_and_b32 vcc_lo, exec_lo, s9
	s_cbranch_vccnz .LBB0_16
; %bb.9:                                ;   in Loop: Header=BB0_8 Depth=1
	s_and_b32 s16, 0xffff, s21
	s_mov_b32 s22, -1
	s_cmp_lt_i32 s16, 21
	s_mov_b32 s10, 0
	s_mov_b32 s9, 0
                                        ; implicit-def: $sgpr11
                                        ; implicit-def: $sgpr17
	s_cbranch_scc1 .LBB0_23
; %bb.10:                               ;   in Loop: Header=BB0_8 Depth=1
	s_cmp_gt_i32 s16, 26
	s_cbranch_scc0 .LBB0_18
; %bb.11:                               ;   in Loop: Header=BB0_8 Depth=1
	s_cmp_eq_u32 s16, 27
	s_mov_b32 s9, -1
                                        ; implicit-def: $sgpr11
	s_cbranch_scc0 .LBB0_19
; %bb.12:                               ;   in Loop: Header=BB0_8 Depth=1
	s_sub_i32 s9, s7, 24
	s_add_i32 s11, s7, -8
	v_mov_b32_e32 v2, s9
	s_sub_i32 s17, s7, 32
	v_mov_b32_e32 v4, s11
	v_mov_b32_e32 v8, s17
	s_add_i32 s11, s7, -16
	s_clause 0x5
	buffer_load_dword v6, v2, s[0:3], 0 offen
	buffer_load_dword v7, v2, s[0:3], 0 offen offset:4
	buffer_load_dword v2, v4, s[0:3], 0 offen
	buffer_load_dword v4, v4, s[0:3], 0 offen offset:4
	buffer_load_dword v11, v8, s[0:3], 0 offen
	buffer_load_dword v12, v8, s[0:3], 0 offen offset:4
	s_mov_b32 s22, exec_lo
	s_waitcnt vmcnt(4)
	v_cmpx_ne_u64_e32 0, v[6:7]
	s_cbranch_execz .LBB0_15
; %bb.13:                               ;   in Loop: Header=BB0_8 Depth=1
	v_mov_b32_e32 v9, s11
	s_mov_b32 s23, 0
	s_clause 0x1
	buffer_load_dword v8, v9, s[0:3], 0 offen
	buffer_load_dword v9, v9, s[0:3], 0 offen offset:4
.LBB0_14:                               ;   Parent Loop BB0_8 Depth=1
                                        ; =>  This Inner Loop Header: Depth=2
	flat_load_dwordx2 v[13:14], v[6:7]
	s_waitcnt vmcnt(1)
	flat_store_dwordx2 v[6:7], v[8:9]
	s_waitcnt vmcnt(0) lgkmcnt(1)
	v_cmp_eq_u64_e32 vcc_lo, 0, v[13:14]
	v_mov_b32_e32 v6, v13
	v_mov_b32_e32 v7, v14
	s_or_b32 s23, vcc_lo, s23
	s_andn2_b32 exec_lo, exec_lo, s23
	s_cbranch_execnz .LBB0_14
.LBB0_15:                               ;   in Loop: Header=BB0_8 Depth=1
	s_or_b32 exec_lo, exec_lo, s22
	v_mov_b32_e32 v6, s17
	v_mov_b32_e32 v7, s9
	s_mov_b32 s9, 0
	s_waitcnt vmcnt(0)
	buffer_store_dword v12, v6, s[0:3], 0 offen offset:4
	buffer_store_dword v11, v6, s[0:3], 0 offen
	buffer_store_dword v4, v7, s[0:3], 0 offen offset:4
	buffer_store_dword v2, v7, s[0:3], 0 offen
	s_mov_b32 s17, s20
	s_branch .LBB0_22
.LBB0_16:                               ;   in Loop: Header=BB0_8 Depth=1
	s_mov_b32 s9, 0
                                        ; implicit-def: $sgpr11
                                        ; implicit-def: $sgpr17
	s_branch .LBB0_40
.LBB0_17:                               ;   in Loop: Header=BB0_8 Depth=1
	s_mov_b32 s20, s17
	s_and_b32 vcc_lo, exec_lo, s9
	s_mov_b32 s9, -1
	s_cbranch_vccz .LBB0_7
	s_branch .LBB0_52
.LBB0_18:                               ;   in Loop: Header=BB0_8 Depth=1
                                        ; implicit-def: $sgpr11
	s_mov_b32 s17, s20
	s_cbranch_execnz .LBB0_20
	s_branch .LBB0_22
.LBB0_19:                               ;   in Loop: Header=BB0_8 Depth=1
	s_mov_b32 s17, s20
	s_branch .LBB0_22
.LBB0_20:                               ;   in Loop: Header=BB0_8 Depth=1
	s_cmp_eq_u32 s16, 21
	s_mov_b32 s9, -1
                                        ; implicit-def: $sgpr11
                                        ; implicit-def: $sgpr17
	s_cbranch_scc0 .LBB0_22
; %bb.21:                               ;   in Loop: Header=BB0_8 Depth=1
	s_mul_i32 s9, s20, 40
	v_mov_b32_e32 v4, s20
	v_mov_b32_e32 v2, v1
	v_add_nc_u32_e64 v6, 0x1800, s9
	s_mov_b64 s[22:23], src_shared_base
	s_add_i32 s22, s9, 0x1f48
	s_mov_b32 s24, s8
	v_mov_b32_e32 v11, s9
	s_add_i32 s11, s9, 0x1f40
	s_mov_b32 s9, s8
	s_mov_b32 s25, s8
	ds_write2_b64 v6, v[3:4], v[1:2] offset0:232 offset1:235
	v_mov_b32_e32 v2, s22
	v_mov_b32_e32 v6, s8
	;; [unrolled: 1-line block ×7, first 2 shown]
	s_waitcnt vmcnt(0)
	v_mov_b32_e32 v13, s11
	s_add_i32 s17, s20, 1
	ds_write_b32 v11, v1 offset:8032
	ds_write_b8 v11, v1 offset:8036
	ds_write2_b64 v2, v[6:7], v[8:9] offset1:1
	s_add_i32 s11, s7, 16
	buffer_store_dword v4, v12, s[0:3], 0 offen offset:4
	buffer_store_dword v13, v12, s[0:3], 0 offen
	buffer_store_dword v4, v12, s[0:3], 0 offen offset:12
	s_mov_b32 s9, 0
	buffer_store_dword v2, v12, s[0:3], 0 offen offset:8
.LBB0_22:                               ;   in Loop: Header=BB0_8 Depth=1
	s_mov_b32 s22, 0
.LBB0_23:                               ;   in Loop: Header=BB0_8 Depth=1
	s_and_b32 vcc_lo, exec_lo, s22
	s_cbranch_vccz .LBB0_26
; %bb.24:                               ;   in Loop: Header=BB0_8 Depth=1
	s_cmp_gt_i32 s16, 3
	s_cbranch_scc0 .LBB0_27
; %bb.25:                               ;   in Loop: Header=BB0_8 Depth=1
	s_cmp_lg_u32 s16, 4
	s_mov_b32 s22, -1
	s_mov_b32 s10, 0
	s_cselect_b32 s9, -1, 0
	s_branch .LBB0_28
.LBB0_26:                               ;   in Loop: Header=BB0_8 Depth=1
	s_mov_b32 s22, 0
	s_and_b32 vcc_lo, exec_lo, s9
	s_cbranch_vccnz .LBB0_29
	s_branch .LBB0_30
.LBB0_27:                               ;   in Loop: Header=BB0_8 Depth=1
	s_mov_b32 s22, 0
	s_mov_b32 s10, -1
.LBB0_28:                               ;   in Loop: Header=BB0_8 Depth=1
	s_add_i32 s11, s7, 16
	s_and_b32 vcc_lo, exec_lo, s9
	s_cbranch_vccz .LBB0_30
.LBB0_29:                               ;   in Loop: Header=BB0_8 Depth=1
	s_mul_i32 s9, s20, 40
	s_mov_b64 s[22:23], src_shared_base
	s_add_i32 s22, s9, 0x1f48
	s_add_i32 s16, s9, 0x1f40
	s_mov_b32 s24, s8
	v_mov_b32_e32 v4, s9
	v_bfe_i32 v6, v10, 0, 8
	v_mov_b32_e32 v7, s20
	v_mov_b32_e32 v2, v1
	v_add_nc_u32_e64 v12, 0x1800, s9
	s_mov_b32 s9, s8
	s_mov_b32 s25, s8
	s_waitcnt vmcnt(0)
	v_mov_b32_e32 v13, s22
	v_mov_b32_e32 v14, s23
	;; [unrolled: 1-line block ×8, first 2 shown]
	s_add_i32 s17, s20, 1
	s_mov_b32 s22, 0
	ds_write_b32 v4, v1 offset:8032
	ds_write2_b64 v12, v[6:7], v[1:2] offset0:232 offset1:235
	ds_write_b8 v4, v1 offset:8036
	ds_write2_b64 v13, v[8:9], v[10:11] offset1:1
	buffer_store_dword v14, v16, s[0:3], 0 offen offset:4
	buffer_store_dword v17, v16, s[0:3], 0 offen
	buffer_store_dword v14, v16, s[0:3], 0 offen offset:12
	buffer_store_dword v13, v16, s[0:3], 0 offen offset:8
.LBB0_30:                               ;   in Loop: Header=BB0_8 Depth=1
	s_andn2_b32 vcc_lo, exec_lo, s22
	s_cbranch_vccz .LBB0_32
; %bb.31:                               ;   in Loop: Header=BB0_8 Depth=1
	s_and_b32 vcc_lo, exec_lo, s10
	s_cbranch_vccnz .LBB0_35
	s_branch .LBB0_39
.LBB0_32:                               ;   in Loop: Header=BB0_8 Depth=1
	s_sub_i32 s9, s7, 32
	s_sub_i32 s16, s7, 24
	v_mov_b32_e32 v2, s9
	s_add_i32 s11, s7, -16
	s_add_i32 s17, s7, -8
	v_mov_b32_e32 v4, s16
	v_mov_b32_e32 v6, s11
	;; [unrolled: 1-line block ×3, first 2 shown]
	s_clause 0x7
	buffer_load_dword v11, v2, s[0:3], 0 offen
	buffer_load_dword v12, v2, s[0:3], 0 offen offset:4
	buffer_load_dword v7, v4, s[0:3], 0 offen
	buffer_load_dword v8, v4, s[0:3], 0 offen offset:4
	;; [unrolled: 2-line block ×4, first 2 shown]
	s_mul_i32 s22, s20, 40
	v_mov_b32_e32 v2, v1
	s_add_i32 s23, s22, 0x1f48
	v_mov_b32_e32 v4, s22
	v_mov_b32_e32 v18, s23
	;; [unrolled: 1-line block ×3, first 2 shown]
	v_add_nc_u32_e64 v19, 0x1800, s22
	s_add_i32 s17, s22, 0x1f40
	s_mov_b32 s22, 0
	ds_write_b32 v4, v1 offset:8032
	s_waitcnt vmcnt(2)
	ds_write2_b64 v18, v[11:12], v[16:17] offset1:1
	ds_write2_b64 v19, v[5:6], v[1:2] offset0:232 offset1:235
	ds_write_b8 v4, v1 offset:8036
	v_mov_b32_e32 v14, v8
	v_mov_b32_e32 v13, v7
.LBB0_33:                               ;   Parent Loop BB0_8 Depth=1
                                        ; =>  This Inner Loop Header: Depth=2
	v_mov_b32_e32 v11, v13
	v_mov_b32_e32 v12, v14
	flat_load_dwordx2 v[13:14], v[13:14]
	s_waitcnt vmcnt(0) lgkmcnt(0)
	v_cmp_eq_u64_e32 vcc_lo, 0, v[13:14]
	s_or_b32 s22, vcc_lo, s22
	s_andn2_b32 exec_lo, exec_lo, s22
	s_cbranch_execnz .LBB0_33
; %bb.34:                               ;   in Loop: Header=BB0_8 Depth=1
	s_or_b32 exec_lo, exec_lo, s22
	s_mov_b64 s[22:23], src_shared_base
	v_mov_b32_e32 v2, s9
	v_mov_b32_e32 v4, s23
	v_mov_b32_e32 v6, s17
	v_mov_b32_e32 v13, s16
	s_add_i32 s17, s20, 1
	flat_store_dwordx2 v[11:12], v[9:10]
	buffer_store_dword v4, v2, s[0:3], 0 offen offset:4
	buffer_store_dword v6, v2, s[0:3], 0 offen
	buffer_store_dword v8, v13, s[0:3], 0 offen offset:4
	buffer_store_dword v7, v13, s[0:3], 0 offen
	s_and_b32 vcc_lo, exec_lo, s10
	s_cbranch_vccz .LBB0_39
.LBB0_35:                               ;   in Loop: Header=BB0_8 Depth=1
	s_mov_b64 s[10:11], src_shared_base
	s_add_i32 s10, s7, -16
	s_add_i32 s9, s7, -8
	v_mov_b32_e32 v2, s10
	v_mov_b32_e32 v4, s9
	s_mul_i32 s16, s20, 40
	v_mov_b32_e32 v6, s20
	s_add_i32 s17, s16, 0x1f48
	s_clause 0x3
	buffer_load_dword v9, v2, s[0:3], 0 offen
	buffer_load_dword v10, v2, s[0:3], 0 offen offset:4
	buffer_load_dword v7, v4, s[0:3], 0 offen
	buffer_load_dword v8, v4, s[0:3], 0 offen offset:4
	v_mov_b32_e32 v2, v1
	v_mov_b32_e32 v4, s17
	v_mov_b32_e32 v11, s16
	v_add_nc_u32_e64 v12, 0x1800, s16
	s_addk_i32 s16, 0x1f40
	s_mov_b32 s22, exec_lo
	s_waitcnt vmcnt(2)
	ds_write2_b64 v4, v[9:10], v[1:2] offset1:1
	ds_write_b32 v11, v1 offset:8032
	ds_write2_b64 v12, v[5:6], v[1:2] offset0:232 offset1:235
	ds_write_b8 v11, v1 offset:8036
	s_waitcnt vmcnt(0)
	v_cmpx_ne_u64_e32 0, v[7:8]
	s_cbranch_execz .LBB0_38
; %bb.36:                               ;   in Loop: Header=BB0_8 Depth=1
	s_mov_b32 s17, s11
	v_mov_b32_e32 v9, s16
	v_mov_b32_e32 v10, s17
	s_mov_b32 s17, 0
.LBB0_37:                               ;   Parent Loop BB0_8 Depth=1
                                        ; =>  This Inner Loop Header: Depth=2
	flat_load_dwordx2 v[11:12], v[7:8]
	flat_store_dwordx2 v[7:8], v[9:10]
	s_waitcnt vmcnt(0) lgkmcnt(1)
	v_cmp_eq_u64_e32 vcc_lo, 0, v[11:12]
	v_mov_b32_e32 v7, v11
	v_mov_b32_e32 v8, v12
	s_or_b32 s17, vcc_lo, s17
	s_andn2_b32 exec_lo, exec_lo, s17
	s_cbranch_execnz .LBB0_37
.LBB0_38:                               ;   in Loop: Header=BB0_8 Depth=1
	s_or_b32 exec_lo, exec_lo, s22
	v_mov_b32_e32 v2, v1
	v_mov_b32_e32 v4, s16
	s_mov_b64 s[22:23], src_shared_base
	s_add_i32 s22, s16, 16
	v_mov_b32_e32 v6, s11
	v_mov_b32_e32 v7, s10
	;; [unrolled: 1-line block ×3, first 2 shown]
	ds_write_b64 v4, v[1:2] offset:16
	v_mov_b32_e32 v2, s22
	v_mov_b32_e32 v8, s16
	;; [unrolled: 1-line block ×3, first 2 shown]
	s_add_i32 s17, s20, 1
	s_mov_b32 s11, s7
	buffer_store_dword v6, v7, s[0:3], 0 offen offset:4
	buffer_store_dword v8, v7, s[0:3], 0 offen
	buffer_store_dword v9, v10, s[0:3], 0 offen offset:4
	buffer_store_dword v2, v10, s[0:3], 0 offen
.LBB0_39:                               ;   in Loop: Header=BB0_8 Depth=1
	s_mov_b32 s9, -1
	s_cbranch_execnz .LBB0_17
.LBB0_40:                               ;   in Loop: Header=BB0_8 Depth=1
	s_and_b32 s11, 0xffff, s21
                                        ; implicit-def: $sgpr21
	s_cmp_gt_i32 s11, 0
	s_cbranch_scc0 .LBB0_51
; %bb.41:                               ;   in Loop: Header=BB0_8 Depth=1
	s_mov_b32 s10, -1
	s_cmp_gt_i32 s11, 1
	s_mul_i32 s9, s20, 40
                                        ; implicit-def: $sgpr21
	s_cbranch_scc0 .LBB0_45
; %bb.42:                               ;   in Loop: Header=BB0_8 Depth=1
	s_add_i32 s10, s7, -8
	s_add_i32 s11, s7, -16
	v_mov_b32_e32 v2, s10
	v_mov_b32_e32 v4, s11
	;; [unrolled: 1-line block ×3, first 2 shown]
	s_waitcnt vmcnt(0)
	v_mov_b32_e32 v13, s9
	s_add_i32 s17, s9, 0x1f48
	s_clause 0x3
	buffer_load_dword v7, v2, s[0:3], 0 offen
	buffer_load_dword v8, v2, s[0:3], 0 offen offset:4
	buffer_load_dword v9, v4, s[0:3], 0 offen
	buffer_load_dword v10, v4, s[0:3], 0 offen offset:4
	v_mov_b32_e32 v2, v1
	v_add_nc_u32_e64 v4, 0x1800, s9
	s_add_i32 s16, s9, 0x1f40
	ds_write2_b64 v4, v[5:6], v[1:2] offset0:232 offset1:235
	v_mov_b32_e32 v4, s17
	s_mov_b32 s17, 0
	ds_write_b32 v13, v1 offset:8032
	ds_write_b8 v13, v1 offset:8036
	s_waitcnt vmcnt(0)
	ds_write2_b64 v4, v[9:10], v[1:2] offset1:1
	v_mov_b32_e32 v12, v8
	v_mov_b32_e32 v11, v7
.LBB0_43:                               ;   Parent Loop BB0_8 Depth=1
                                        ; =>  This Inner Loop Header: Depth=2
	v_mov_b32_e32 v9, v11
	v_mov_b32_e32 v10, v12
	flat_load_dwordx2 v[11:12], v[11:12]
	s_waitcnt vmcnt(0) lgkmcnt(0)
	v_cmp_eq_u64_e32 vcc_lo, 0, v[11:12]
	s_or_b32 s17, vcc_lo, s17
	s_andn2_b32 exec_lo, exec_lo, s17
	s_cbranch_execnz .LBB0_43
; %bb.44:                               ;   in Loop: Header=BB0_8 Depth=1
	s_or_b32 exec_lo, exec_lo, s17
	s_mov_b64 s[22:23], src_shared_base
	s_add_i32 s17, s16, 16
	v_mov_b32_e32 v12, s23
	v_mov_b32_e32 v11, s17
	;; [unrolled: 1-line block ×5, first 2 shown]
	s_add_i32 s21, s20, 1
	flat_store_dwordx2 v[9:10], v[11:12]
	buffer_store_dword v12, v2, s[0:3], 0 offen offset:4
	buffer_store_dword v4, v2, s[0:3], 0 offen
	buffer_store_dword v8, v6, s[0:3], 0 offen offset:4
	s_mov_b32 s10, 0
	buffer_store_dword v7, v6, s[0:3], 0 offen
.LBB0_45:                               ;   in Loop: Header=BB0_8 Depth=1
	s_and_b32 vcc_lo, exec_lo, s10
	s_cbranch_vccz .LBB0_50
; %bb.46:                               ;   in Loop: Header=BB0_8 Depth=1
	s_add_i32 s16, s7, -16
	s_add_i32 s17, s7, -8
	v_mov_b32_e32 v2, s16
	v_mov_b32_e32 v4, s17
	s_add_i32 s10, s9, 0x1f48
	v_mov_b32_e32 v11, s9
	v_mov_b32_e32 v6, s20
	s_clause 0x3
	buffer_load_dword v7, v2, s[0:3], 0 offen
	buffer_load_dword v8, v2, s[0:3], 0 offen offset:4
	buffer_load_dword v9, v4, s[0:3], 0 offen
	buffer_load_dword v10, v4, s[0:3], 0 offen offset:4
	v_mov_b32_e32 v2, v1
	v_mov_b32_e32 v4, s10
	v_add_nc_u32_e64 v12, 0x1800, s9
	s_add_i32 s10, s9, 0x1f40
	s_mov_b32 s9, exec_lo
	s_waitcnt vmcnt(2)
	ds_write2_b64 v4, v[7:8], v[1:2] offset1:1
	ds_write_b32 v11, v1 offset:8032
	ds_write2_b64 v12, v[5:6], v[1:2] offset0:232 offset1:235
	ds_write_b8 v11, v1 offset:8036
	s_waitcnt vmcnt(0)
	v_cmpx_ne_u64_e32 0, v[9:10]
	s_cbranch_execz .LBB0_49
; %bb.47:                               ;   in Loop: Header=BB0_8 Depth=1
	s_mov_b64 s[22:23], src_shared_base
	s_mov_b32 s11, s23
	v_mov_b32_e32 v12, s11
	v_mov_b32_e32 v11, s10
	s_mov_b32 s11, 0
.LBB0_48:                               ;   Parent Loop BB0_8 Depth=1
                                        ; =>  This Inner Loop Header: Depth=2
	flat_load_dwordx2 v[13:14], v[9:10]
	flat_store_dwordx2 v[9:10], v[11:12]
	s_waitcnt vmcnt(0) lgkmcnt(1)
	v_cmp_eq_u64_e32 vcc_lo, 0, v[13:14]
	v_mov_b32_e32 v9, v13
	v_mov_b32_e32 v10, v14
	s_or_b32 s11, vcc_lo, s11
	s_andn2_b32 exec_lo, exec_lo, s11
	s_cbranch_execnz .LBB0_48
.LBB0_49:                               ;   in Loop: Header=BB0_8 Depth=1
	s_or_b32 exec_lo, exec_lo, s9
	s_mov_b64 s[22:23], src_shared_base
	v_mov_b32_e32 v2, v1
	v_mov_b32_e32 v4, s10
	;; [unrolled: 1-line block ×3, first 2 shown]
	s_add_i32 s9, s10, 16
	v_mov_b32_e32 v9, s23
	v_mov_b32_e32 v10, s17
	s_add_i32 s21, s20, 1
	v_mov_b32_e32 v11, s9
	ds_write_b64 v4, v[1:2] offset:16
	buffer_store_dword v8, v6, s[0:3], 0 offen offset:4
	buffer_store_dword v7, v6, s[0:3], 0 offen
	buffer_store_dword v9, v10, s[0:3], 0 offen offset:4
	buffer_store_dword v11, v10, s[0:3], 0 offen
.LBB0_50:                               ;   in Loop: Header=BB0_8 Depth=1
	s_mov_b32 s9, -1
.LBB0_51:                               ;   in Loop: Header=BB0_8 Depth=1
	s_mov_b32 s11, s7
	s_mov_b32 s20, s21
	s_and_b32 vcc_lo, exec_lo, s9
	s_mov_b32 s9, -1
	s_cbranch_vccz .LBB0_7
.LBB0_52:                               ;   in Loop: Header=BB0_8 Depth=1
	s_add_i32 s19, s19, 1
	s_mov_b32 s9, 0
	s_branch .LBB0_7
.LBB0_53:
	v_mov_b32_e32 v1, 0
	v_mov_b32_e32 v2, 0
	s_add_i32 s8, s7, -16
	s_cmp_lg_u32 s8, 16
	s_cbranch_scc1 .LBB0_150
; %bb.54:
	s_add_i32 s7, s7, -8
	v_mov_b32_e32 v1, s7
	s_mov_b32 s7, exec_lo
	s_clause 0x3
	buffer_load_dword v3, v1, s[0:3], 0 offen
	buffer_load_dword v4, v1, s[0:3], 0 offen offset:4
	buffer_load_dword v1, off, s[0:3], 0 offset:16
	buffer_load_dword v2, off, s[0:3], 0 offset:20
	s_waitcnt vmcnt(2)
	v_cmpx_ne_u64_e32 0, v[3:4]
	s_cbranch_execz .LBB0_57
; %bb.55:
	v_mov_b32_e32 v5, s14
	v_mov_b32_e32 v6, s15
	s_mov_b32 s8, 0
.LBB0_56:                               ; =>This Inner Loop Header: Depth=1
	flat_load_dwordx2 v[7:8], v[3:4]
	flat_store_dwordx2 v[3:4], v[5:6]
	s_waitcnt vmcnt(0) lgkmcnt(1)
	v_cmp_eq_u64_e32 vcc_lo, 0, v[7:8]
	v_mov_b32_e32 v3, v7
	v_mov_b32_e32 v4, v8
	s_or_b32 s8, vcc_lo, s8
	s_andn2_b32 exec_lo, exec_lo, s8
	s_cbranch_execnz .LBB0_56
.LBB0_57:
	s_or_b32 exec_lo, exec_lo, s7
	s_branch .LBB0_150
.LBB0_58:
	s_cbranch_execz .LBB0_5
.LBB0_59:
	v_mov_b32_e32 v4, 0
	v_mov_b32_e32 v2, 0
	;; [unrolled: 1-line block ×9, first 2 shown]
	s_mov_b32 s10, 0
                                        ; implicit-def: $sgpr11
	s_branch .LBB0_61
.LBB0_60:                               ;   in Loop: Header=BB0_61 Depth=1
	s_or_b32 exec_lo, exec_lo, s20
	s_and_b32 s7, exec_lo, s7
	s_or_b32 s10, s7, s10
	s_andn2_b32 s7, s11, exec_lo
	s_and_b32 s11, s17, exec_lo
	s_or_b32 s11, s7, s11
	s_andn2_b32 exec_lo, exec_lo, s10
	s_cbranch_execz .LBB0_124
.LBB0_61:                               ; =>This Loop Header: Depth=1
                                        ;     Child Loop BB0_106 Depth 2
                                        ;     Child Loop BB0_110 Depth 2
	;; [unrolled: 1-line block ×6, first 2 shown]
	s_and_b32 s20, s16, 0xff
	s_mov_b32 s17, -1
	s_mov_b32 s19, 0
	s_cmp_lt_i32 s20, 4
	s_mov_b32 s7, -1
                                        ; implicit-def: $vgpr12
                                        ; implicit-def: $vgpr11
                                        ; implicit-def: $vgpr13
                                        ; implicit-def: $vgpr10
	s_cbranch_scc1 .LBB0_116
; %bb.62:                               ;   in Loop: Header=BB0_61 Depth=1
	s_and_b32 s7, 0xffff, s20
	s_cmp_gt_i32 s7, 4
	s_cbranch_scc0 .LBB0_69
; %bb.63:                               ;   in Loop: Header=BB0_61 Depth=1
	s_cmp_gt_i32 s7, 5
	s_cbranch_scc0 .LBB0_70
; %bb.64:                               ;   in Loop: Header=BB0_61 Depth=1
	s_cmp_lg_u32 s7, 6
	s_cbranch_scc0 .LBB0_71
; %bb.65:                               ;   in Loop: Header=BB0_61 Depth=1
	v_mov_b32_e32 v12, v1
	v_mov_b32_e32 v11, v3
	s_mov_b32 s7, exec_lo
	v_cmpx_lt_i32_e32 1, v3
; %bb.66:                               ;   in Loop: Header=BB0_61 Depth=1
	v_add_nc_u32_e32 v11, -1, v3
	v_add_nc_u32_e32 v12, 1, v1
	ds_write_b8 v1, v5
; %bb.67:                               ;   in Loop: Header=BB0_61 Depth=1
	s_or_b32 exec_lo, exec_lo, s7
	s_waitcnt vmcnt(0)
	v_mov_b32_e32 v13, s16
	v_add_nc_u32_e32 v10, 1, v12
	v_add_nc_u32_e32 v11, 1, v11
	s_mov_b32 s19, -1
	ds_write_b8 v12, v13
.LBB0_68:                               ;   in Loop: Header=BB0_61 Depth=1
	v_mov_b32_e32 v12, v9
	s_waitcnt vmcnt(0)
	v_mov_b32_e32 v13, v2
	s_branch .LBB0_95
.LBB0_69:                               ;   in Loop: Header=BB0_61 Depth=1
                                        ; implicit-def: $vgpr12
                                        ; implicit-def: $vgpr11
                                        ; implicit-def: $vgpr13
                                        ; implicit-def: $vgpr10
	s_cbranch_execnz .LBB0_102
	s_branch .LBB0_115
.LBB0_70:                               ;   in Loop: Header=BB0_61 Depth=1
                                        ; implicit-def: $vgpr12
                                        ; implicit-def: $vgpr11
                                        ; implicit-def: $vgpr13
                                        ; implicit-def: $vgpr10
	s_cbranch_execnz .LBB0_96
	s_branch .LBB0_101
.LBB0_71:                               ;   in Loop: Header=BB0_61 Depth=1
                                        ; implicit-def: $vgpr11
                                        ; implicit-def: $vgpr10
	s_cbranch_execz .LBB0_68
; %bb.72:                               ;   in Loop: Header=BB0_61 Depth=1
	v_cmp_ne_u32_e32 vcc_lo, 0, v9
	v_cmp_ne_u32_e64 s7, 0, v3
	v_mov_b32_e32 v12, v9
	v_mov_b32_e32 v11, v3
	s_waitcnt vmcnt(0)
	v_mov_b32_e32 v13, v2
	v_mov_b32_e32 v10, v1
	s_and_b32 s21, vcc_lo, s7
	s_and_saveexec_b32 s7, s21
	s_cbranch_execz .LBB0_94
; %bb.73:                               ;   in Loop: Header=BB0_61 Depth=1
	v_mov_b32_e32 v10, v1
	s_mov_b32 s21, exec_lo
	v_cmpx_lt_i32_e32 1, v3
	s_cbranch_execz .LBB0_83
; %bb.74:                               ;   in Loop: Header=BB0_61 Depth=1
	v_mov_b32_e32 v10, v1
	v_mov_b32_e32 v11, v3
	s_mov_b32 s23, -1
	s_mov_b32 s22, exec_lo
	v_cmpx_lt_u32_e32 4, v3
	s_cbranch_execz .LBB0_78
; %bb.75:                               ;   in Loop: Header=BB0_61 Depth=1
	v_add_nc_u32_e32 v11, -1, v3
	v_mov_b32_e32 v12, v1
	s_mov_b32 s23, 0
	v_and_b32_e32 v10, -4, v11
	v_mov_b32_e32 v13, v10
.LBB0_76:                               ;   Parent Loop BB0_61 Depth=1
                                        ; =>  This Inner Loop Header: Depth=2
	v_add_nc_u32_e32 v13, -4, v13
	ds_write_b32 v12, v6
	v_add_nc_u32_e32 v12, 4, v12
	v_cmp_eq_u32_e32 vcc_lo, 0, v13
	s_or_b32 s23, vcc_lo, s23
	s_andn2_b32 exec_lo, exec_lo, s23
	s_cbranch_execnz .LBB0_76
; %bb.77:                               ;   in Loop: Header=BB0_61 Depth=1
	s_or_b32 exec_lo, exec_lo, s23
	v_cmp_ne_u32_e32 vcc_lo, v11, v10
	v_sub_nc_u32_e32 v11, v3, v10
	v_add_nc_u32_e32 v10, v1, v10
	s_orn2_b32 s23, vcc_lo, exec_lo
.LBB0_78:                               ;   in Loop: Header=BB0_61 Depth=1
	s_or_b32 exec_lo, exec_lo, s22
	s_and_saveexec_b32 s22, s23
	s_cbranch_execz .LBB0_82
; %bb.79:                               ;   in Loop: Header=BB0_61 Depth=1
	v_add_nc_u32_e32 v11, 1, v11
	s_mov_b32 s23, 0
.LBB0_80:                               ;   Parent Loop BB0_61 Depth=1
                                        ; =>  This Inner Loop Header: Depth=2
	v_add_nc_u32_e32 v11, -1, v11
	v_mov_b32_e32 v12, v10
	v_cmp_gt_u32_e32 vcc_lo, 3, v11
	v_add_nc_u32_e32 v10, 1, v12
	ds_write_b8 v12, v5
	s_or_b32 s23, vcc_lo, s23
	s_andn2_b32 exec_lo, exec_lo, s23
	s_cbranch_execnz .LBB0_80
; %bb.81:                               ;   in Loop: Header=BB0_61 Depth=1
	s_or_b32 exec_lo, exec_lo, s23
.LBB0_82:                               ;   in Loop: Header=BB0_61 Depth=1
	s_or_b32 exec_lo, exec_lo, s22
.LBB0_83:                               ;   in Loop: Header=BB0_61 Depth=1
	s_or_b32 exec_lo, exec_lo, s21
	s_mov_b32 s21, exec_lo
	v_cmpx_lt_i32_e32 0, v2
	s_cbranch_execz .LBB0_93
; %bb.84:                               ;   in Loop: Header=BB0_61 Depth=1
	v_mov_b32_e32 v12, v2
	s_mov_b32 s23, -1
	s_mov_b32 s22, exec_lo
	v_cmpx_lt_u32_e32 3, v2
	s_cbranch_execz .LBB0_88
; %bb.85:                               ;   in Loop: Header=BB0_61 Depth=1
	v_and_b32_e32 v11, 0x7ffffffc, v2
	v_mov_b32_e32 v12, v10
	s_mov_b32 s23, 0
	v_mov_b32_e32 v13, v11
.LBB0_86:                               ;   Parent Loop BB0_61 Depth=1
                                        ; =>  This Inner Loop Header: Depth=2
	v_add_nc_u32_e32 v13, -4, v13
	ds_write_b32 v12, v7
	v_add_nc_u32_e32 v12, 4, v12
	v_cmp_eq_u32_e32 vcc_lo, 0, v13
	s_or_b32 s23, vcc_lo, s23
	s_andn2_b32 exec_lo, exec_lo, s23
	s_cbranch_execnz .LBB0_86
; %bb.87:                               ;   in Loop: Header=BB0_61 Depth=1
	s_or_b32 exec_lo, exec_lo, s23
	v_cmp_ne_u32_e32 vcc_lo, v2, v11
	v_and_b32_e32 v12, 3, v2
	v_add_nc_u32_e32 v10, v10, v11
	s_orn2_b32 s23, vcc_lo, exec_lo
.LBB0_88:                               ;   in Loop: Header=BB0_61 Depth=1
	s_or_b32 exec_lo, exec_lo, s22
	s_and_saveexec_b32 s22, s23
	s_cbranch_execz .LBB0_92
; %bb.89:                               ;   in Loop: Header=BB0_61 Depth=1
	v_add_nc_u32_e32 v11, 1, v12
	s_mov_b32 s23, 0
.LBB0_90:                               ;   Parent Loop BB0_61 Depth=1
                                        ; =>  This Inner Loop Header: Depth=2
	v_add_nc_u32_e32 v11, -1, v11
	v_mov_b32_e32 v12, v10
	v_cmp_gt_u32_e32 vcc_lo, 2, v11
	v_add_nc_u32_e32 v10, 1, v12
	ds_write_b8 v12, v8
	s_or_b32 s23, vcc_lo, s23
	s_andn2_b32 exec_lo, exec_lo, s23
	s_cbranch_execnz .LBB0_90
; %bb.91:                               ;   in Loop: Header=BB0_61 Depth=1
	s_or_b32 exec_lo, exec_lo, s23
.LBB0_92:                               ;   in Loop: Header=BB0_61 Depth=1
	s_or_b32 exec_lo, exec_lo, s22
.LBB0_93:                               ;   in Loop: Header=BB0_61 Depth=1
	s_or_b32 exec_lo, exec_lo, s21
	v_add_nc_u32_e32 v12, -8, v9
	v_add3_u32 v11, 16, v9, -4
	s_or_b32 s19, s19, exec_lo
	v_add_nc_u32_e32 v13, 16, v12
	s_clause 0x1
	buffer_load_dword v11, v11, s[0:3], 0 offen
	buffer_load_dword v13, v13, s[0:3], 0 offen
	s_waitcnt vmcnt(1)
	v_add_nc_u32_e32 v11, 1, v11
.LBB0_94:                               ;   in Loop: Header=BB0_61 Depth=1
	s_or_b32 exec_lo, exec_lo, s7
.LBB0_95:                               ;   in Loop: Header=BB0_61 Depth=1
	s_branch .LBB0_101
.LBB0_96:                               ;   in Loop: Header=BB0_61 Depth=1
	v_mov_b32_e32 v15, v1
	v_mov_b32_e32 v14, v3
	s_mov_b32 s7, exec_lo
	v_cmpx_lt_i32_e32 1, v3
; %bb.97:                               ;   in Loop: Header=BB0_61 Depth=1
	v_add_nc_u32_e32 v14, -1, v3
	v_add_nc_u32_e32 v15, 1, v1
	ds_write_b8 v1, v5
; %bb.98:                               ;   in Loop: Header=BB0_61 Depth=1
	s_or_b32 exec_lo, exec_lo, s7
	v_mov_b32_e32 v12, v9
	v_mov_b32_e32 v11, v3
	s_waitcnt vmcnt(0)
	v_mov_b32_e32 v13, v2
	v_mov_b32_e32 v10, v1
	s_mov_b32 s7, exec_lo
	v_cmpx_gt_i32_e32 0x320, v9
	s_cbranch_execz .LBB0_100
; %bb.99:                               ;   in Loop: Header=BB0_61 Depth=1
	v_add_nc_u32_e32 v16, 16, v9
	v_add_nc_u32_e32 v12, 8, v9
	v_mov_b32_e32 v11, 0
	v_mov_b32_e32 v13, 0
	;; [unrolled: 1-line block ×3, first 2 shown]
	s_or_b32 s19, s19, exec_lo
	buffer_store_dword v2, v16, s[0:3], 0 offen
	buffer_store_dword v14, v16, s[0:3], 0 offen offset:4
.LBB0_100:                              ;   in Loop: Header=BB0_61 Depth=1
	s_or_b32 exec_lo, exec_lo, s7
.LBB0_101:                              ;   in Loop: Header=BB0_61 Depth=1
	s_branch .LBB0_115
.LBB0_102:                              ;   in Loop: Header=BB0_61 Depth=1
	v_mov_b32_e32 v11, v3
	s_waitcnt vmcnt(0)
	v_mov_b32_e32 v13, v2
	v_mov_b32_e32 v10, v1
	s_mov_b32 s7, exec_lo
	v_cmpx_ne_u32_e32 0, v3
	s_cbranch_execz .LBB0_114
; %bb.103:                              ;   in Loop: Header=BB0_61 Depth=1
	v_add_nc_u32_e32 v11, -1, v3
	v_mov_b32_e32 v10, v1
	s_mov_b32 s21, exec_lo
	v_cmpx_lt_i32_e32 1, v3
	s_cbranch_execz .LBB0_113
; %bb.104:                              ;   in Loop: Header=BB0_61 Depth=1
	v_mov_b32_e32 v10, v1
	s_mov_b32 s23, -1
	s_mov_b32 s22, exec_lo
	v_cmpx_lt_u32_e32 4, v3
	s_cbranch_execz .LBB0_108
; %bb.105:                              ;   in Loop: Header=BB0_61 Depth=1
	v_and_b32_e32 v10, -4, v11
	v_mov_b32_e32 v12, v1
	s_mov_b32 s23, 0
	v_mov_b32_e32 v13, v10
.LBB0_106:                              ;   Parent Loop BB0_61 Depth=1
                                        ; =>  This Inner Loop Header: Depth=2
	v_add_nc_u32_e32 v13, -4, v13
	ds_write_b32 v12, v6
	v_add_nc_u32_e32 v12, 4, v12
	v_cmp_eq_u32_e32 vcc_lo, 0, v13
	s_or_b32 s23, vcc_lo, s23
	s_andn2_b32 exec_lo, exec_lo, s23
	s_cbranch_execnz .LBB0_106
; %bb.107:                              ;   in Loop: Header=BB0_61 Depth=1
	s_or_b32 exec_lo, exec_lo, s23
	v_and_b32_e32 v12, 3, v11
	v_cmp_ne_u32_e32 vcc_lo, v11, v10
	v_add_nc_u32_e32 v10, v1, v10
	v_mov_b32_e32 v11, v12
	s_orn2_b32 s23, vcc_lo, exec_lo
.LBB0_108:                              ;   in Loop: Header=BB0_61 Depth=1
	s_or_b32 exec_lo, exec_lo, s22
	s_and_saveexec_b32 s22, s23
	s_cbranch_execz .LBB0_112
; %bb.109:                              ;   in Loop: Header=BB0_61 Depth=1
	v_add_nc_u32_e32 v11, 1, v11
	s_mov_b32 s23, 0
.LBB0_110:                              ;   Parent Loop BB0_61 Depth=1
                                        ; =>  This Inner Loop Header: Depth=2
	v_add_nc_u32_e32 v11, -1, v11
	v_mov_b32_e32 v12, v10
	v_cmp_gt_u32_e32 vcc_lo, 2, v11
	v_add_nc_u32_e32 v10, 1, v12
	ds_write_b8 v12, v5
	s_or_b32 s23, vcc_lo, s23
	s_andn2_b32 exec_lo, exec_lo, s23
	s_cbranch_execnz .LBB0_110
; %bb.111:                              ;   in Loop: Header=BB0_61 Depth=1
	s_or_b32 exec_lo, exec_lo, s23
.LBB0_112:                              ;   in Loop: Header=BB0_61 Depth=1
	s_or_b32 exec_lo, exec_lo, s22
	v_mov_b32_e32 v11, 0
.LBB0_113:                              ;   in Loop: Header=BB0_61 Depth=1
	s_or_b32 exec_lo, exec_lo, s21
	v_add_nc_u32_e32 v13, 1, v2
	s_or_b32 s19, s19, exec_lo
.LBB0_114:                              ;   in Loop: Header=BB0_61 Depth=1
	s_or_b32 exec_lo, exec_lo, s7
	v_mov_b32_e32 v12, v9
.LBB0_115:                              ;   in Loop: Header=BB0_61 Depth=1
	s_mov_b32 s7, 0
.LBB0_116:                              ;   in Loop: Header=BB0_61 Depth=1
	s_and_b32 vcc_lo, exec_lo, s7
	s_cbranch_vccz .LBB0_122
; %bb.117:                              ;   in Loop: Header=BB0_61 Depth=1
	s_and_b32 s7, 0xffff, s20
	s_mov_b32 s17, 0
	s_cmp_gt_i32 s7, 0
	s_cbranch_scc0 .LBB0_121
; %bb.118:                              ;   in Loop: Header=BB0_61 Depth=1
	s_mov_b32 s7, exec_lo
	v_cmpx_ne_u32_e32 0, v3
	s_cbranch_execz .LBB0_120
; %bb.119:                              ;   in Loop: Header=BB0_61 Depth=1
	v_mov_b32_e32 v10, s16
	v_add_nc_u32_e32 v11, 1, v1
	s_or_b32 s19, s19, exec_lo
	ds_write_b8 v1, v10
	v_mov_b32_e32 v1, v11
.LBB0_120:                              ;   in Loop: Header=BB0_61 Depth=1
	s_or_b32 exec_lo, exec_lo, s7
	s_mov_b32 s17, -1
.LBB0_121:                              ;   in Loop: Header=BB0_61 Depth=1
	v_mov_b32_e32 v12, v9
	s_mov_b32 s7, -1
                                        ; implicit-def: $sgpr16
	s_and_saveexec_b32 s20, s19
	s_cbranch_execz .LBB0_60
	s_branch .LBB0_123
.LBB0_122:                              ;   in Loop: Header=BB0_61 Depth=1
	v_mov_b32_e32 v9, v12
	v_mov_b32_e32 v3, v11
	s_waitcnt vmcnt(0)
	v_mov_b32_e32 v2, v13
	v_mov_b32_e32 v1, v10
	s_mov_b32 s7, -1
                                        ; implicit-def: $sgpr16
	s_and_saveexec_b32 s20, s19
	s_cbranch_execz .LBB0_60
.LBB0_123:                              ;   in Loop: Header=BB0_61 Depth=1
	global_load_ubyte v9, v4, s[8:9] offset:1
	s_add_u32 s8, s8, 1
	s_addc_u32 s9, s9, 0
	s_xor_b32 s7, exec_lo, -1
	s_waitcnt vmcnt(0)
	v_readfirstlane_b32 s16, v9
	v_mov_b32_e32 v9, v12
	s_branch .LBB0_60
.LBB0_124:
	s_or_b32 exec_lo, exec_lo, s10
	s_xor_b32 s7, s11, -1
	s_and_saveexec_b32 s8, s7
	s_xor_b32 s7, exec_lo, s8
	s_cbranch_execz .LBB0_148
; %bb.125:
	s_mov_b32 s8, exec_lo
	v_cmpx_eq_u32_e32 0, v12
	s_cbranch_execz .LBB0_147
; %bb.126:
	s_mov_b32 s9, exec_lo
	v_cmpx_lt_i32_e32 1, v3
	s_cbranch_execz .LBB0_136
; %bb.127:
	s_mov_b32 s11, -1
	s_mov_b32 s10, exec_lo
	v_cmpx_lt_u32_e32 4, v3
	s_cbranch_execz .LBB0_131
; %bb.128:
	v_add_nc_u32_e32 v5, -1, v3
	v_mov_b32_e32 v6, 0x1b1b1b1b
	v_mov_b32_e32 v7, v1
	s_mov_b32 s11, 0
	v_and_b32_e32 v4, -4, v5
	v_mov_b32_e32 v8, v4
.LBB0_129:                              ; =>This Inner Loop Header: Depth=1
	v_add_nc_u32_e32 v8, -4, v8
	ds_write_b32 v7, v6
	v_add_nc_u32_e32 v7, 4, v7
	v_cmp_eq_u32_e32 vcc_lo, 0, v8
	s_or_b32 s11, vcc_lo, s11
	s_andn2_b32 exec_lo, exec_lo, s11
	s_cbranch_execnz .LBB0_129
; %bb.130:
	s_or_b32 exec_lo, exec_lo, s11
	v_cmp_ne_u32_e32 vcc_lo, v5, v4
	v_sub_nc_u32_e32 v3, v3, v4
	v_add_nc_u32_e32 v1, v1, v4
	s_orn2_b32 s11, vcc_lo, exec_lo
.LBB0_131:
	s_or_b32 exec_lo, exec_lo, s10
	s_and_saveexec_b32 s10, s11
	s_cbranch_execz .LBB0_135
; %bb.132:
	v_add_nc_u32_e32 v3, 1, v3
	v_mov_b32_e32 v4, 27
	s_mov_b32 s11, 0
.LBB0_133:                              ; =>This Inner Loop Header: Depth=1
	v_add_nc_u32_e32 v3, -1, v3
	v_mov_b32_e32 v5, v1
	v_cmp_gt_u32_e32 vcc_lo, 3, v3
	v_add_nc_u32_e32 v1, 1, v5
	ds_write_b8 v5, v4
	s_or_b32 s11, vcc_lo, s11
	s_andn2_b32 exec_lo, exec_lo, s11
	s_cbranch_execnz .LBB0_133
; %bb.134:
	s_or_b32 exec_lo, exec_lo, s11
.LBB0_135:
	s_or_b32 exec_lo, exec_lo, s10
.LBB0_136:
	s_or_b32 exec_lo, exec_lo, s9
	s_mov_b32 s9, exec_lo
	v_cmpx_lt_i32_e32 0, v2
	s_cbranch_execz .LBB0_146
; %bb.137:
	s_mov_b32 s11, -1
	s_mov_b32 s10, exec_lo
	v_cmpx_lt_u32_e32 3, v2
	s_cbranch_execz .LBB0_141
; %bb.138:
	v_and_b32_e32 v3, 0x7ffffffc, v2
	v_mov_b32_e32 v4, 0x4040404
	v_mov_b32_e32 v5, v1
	s_mov_b32 s11, 0
	v_mov_b32_e32 v6, v3
.LBB0_139:                              ; =>This Inner Loop Header: Depth=1
	v_add_nc_u32_e32 v6, -4, v6
	ds_write_b32 v5, v4
	v_add_nc_u32_e32 v5, 4, v5
	v_cmp_eq_u32_e32 vcc_lo, 0, v6
	s_or_b32 s11, vcc_lo, s11
	s_andn2_b32 exec_lo, exec_lo, s11
	s_cbranch_execnz .LBB0_139
; %bb.140:
	s_or_b32 exec_lo, exec_lo, s11
	v_and_b32_e32 v4, 3, v2
	v_cmp_ne_u32_e32 vcc_lo, v2, v3
	v_add_nc_u32_e32 v1, v1, v3
	v_mov_b32_e32 v2, v4
	s_orn2_b32 s11, vcc_lo, exec_lo
.LBB0_141:
	s_or_b32 exec_lo, exec_lo, s10
	s_and_saveexec_b32 s10, s11
	s_cbranch_execz .LBB0_145
; %bb.142:
	v_add_nc_u32_e32 v2, 1, v2
	v_mov_b32_e32 v3, 4
	s_mov_b32 s11, 0
.LBB0_143:                              ; =>This Inner Loop Header: Depth=1
	v_add_nc_u32_e32 v2, -1, v2
	v_mov_b32_e32 v4, v1
	v_cmp_gt_u32_e32 vcc_lo, 2, v2
	v_add_nc_u32_e32 v1, 1, v4
	ds_write_b8 v4, v3
	s_or_b32 s11, vcc_lo, s11
	s_andn2_b32 exec_lo, exec_lo, s11
	s_cbranch_execnz .LBB0_143
; %bb.144:
	s_or_b32 exec_lo, exec_lo, s11
.LBB0_145:
	s_or_b32 exec_lo, exec_lo, s10
.LBB0_146:
	s_or_b32 exec_lo, exec_lo, s9
	v_mov_b32_e32 v2, 0
	ds_write_b8 v1, v2
.LBB0_147:
	s_or_b32 exec_lo, exec_lo, s8
.LBB0_148:
	s_or_b32 exec_lo, exec_lo, s7
	s_mov_b32 s8, 0
	s_mov_b32 s20, 0
	s_mov_b32 vcc_lo, 0
	s_cbranch_vccz .LBB0_6
.LBB0_149:
	v_mov_b32_e32 v1, 0
	v_mov_b32_e32 v2, 0
.LBB0_150:
	v_mov_b32_e32 v3, 0
	s_waitcnt vmcnt(0)
	ds_write_b64 v3, v[1:2] offset:12000
.LBB0_151:
	s_or_b32 exec_lo, exec_lo, s18
	s_waitcnt lgkmcnt(0)
	s_waitcnt_vscnt null, 0x0
	s_barrier
	buffer_gl0_inv
	s_clause 0x1
	s_load_dword s7, s[4:5], 0x44
	s_load_dword s10, s[4:5], 0x10
	s_add_u32 s8, s4, 56
	s_addc_u32 s9, s5, 0
	s_waitcnt lgkmcnt(0)
	s_and_b32 s11, s7, 0xffff
	v_mad_u64_u32 v[0:1], null, s6, s11, v[0:1]
	s_mov_b32 s6, exec_lo
	v_cmpx_gt_i32_e64 s10, v0
	s_cbranch_execz .LBB0_185
; %bb.152:
	v_mov_b32_e32 v8, 0
	s_load_dword s8, s[8:9], 0x0
	s_load_dwordx4 s[4:7], s[4:5], 0x0
	s_mov_b32 s9, 0
	ds_read_b64 v[2:3], v8 offset:12000
	s_waitcnt lgkmcnt(0)
	s_mul_i32 s8, s8, s11
	s_branch .LBB0_155
.LBB0_153:                              ;   in Loop: Header=BB0_155 Depth=1
	s_inst_prefetch 0x2
	s_or_b32 exec_lo, exec_lo, s14
.LBB0_154:                              ;   in Loop: Header=BB0_155 Depth=1
	s_or_b32 exec_lo, exec_lo, s11
	v_add_co_u32 v5, vcc_lo, s12, v0
	v_add_nc_u32_e32 v0, s8, v0
	v_add_co_ci_u32_e64 v6, null, s13, v1, vcc_lo
	v_cmp_le_i32_e32 vcc_lo, s10, v0
	global_store_byte v[5:6], v4, off
	s_or_b32 s9, vcc_lo, s9
	s_andn2_b32 exec_lo, exec_lo, s9
	s_cbranch_execz .LBB0_185
.LBB0_155:                              ; =>This Loop Header: Depth=1
                                        ;     Child Loop BB0_158 Depth 2
                                        ;     Child Loop BB0_166 Depth 2
                                        ;       Child Loop BB0_170 Depth 3
                                        ;         Child Loop BB0_174 Depth 4
                                        ;     Child Loop BB0_183 Depth 2
	v_ashrrev_i32_e32 v1, 31, v0
	v_mov_b32_e32 v10, 1
	v_mov_b32_e32 v6, 0
	;; [unrolled: 1-line block ×3, first 2 shown]
	s_mov_b32 s11, 0
	v_lshlrev_b64 v[4:5], 2, v[0:1]
	buffer_store_dword v3, off, s[0:3], 0 offset:20
	buffer_store_dword v2, off, s[0:3], 0 offset:16
	v_add_co_u32 v4, vcc_lo, s6, v4
	v_add_co_ci_u32_e64 v5, null, s7, v5, vcc_lo
	global_load_dword v7, v[4:5], off
	s_branch .LBB0_158
.LBB0_156:                              ;   in Loop: Header=BB0_158 Depth=2
	s_or_b32 exec_lo, exec_lo, s15
	v_mov_b32_e32 v11, v13
.LBB0_157:                              ;   in Loop: Header=BB0_158 Depth=2
	s_or_b32 exec_lo, exec_lo, s14
	v_cmp_eq_u32_e32 vcc_lo, 0, v9
	v_mov_b32_e32 v10, v9
	s_or_b32 s11, vcc_lo, s11
	s_andn2_b32 exec_lo, exec_lo, s11
	s_cbranch_execz .LBB0_163
.LBB0_158:                              ;   Parent Loop BB0_155 Depth=1
                                        ; =>  This Inner Loop Header: Depth=2
	v_add_nc_u32_e32 v9, -1, v10
	s_mov_b32 s14, exec_lo
	v_lshl_add_u32 v12, v9, 3, 16
	s_clause 0x1
	buffer_load_dword v4, v12, s[0:3], 0 offen
	buffer_load_dword v5, v12, s[0:3], 0 offen offset:4
	s_waitcnt vmcnt(0)
	v_cmpx_ne_u64_e32 0, v[4:5]
	s_cbranch_execz .LBB0_157
; %bb.159:                              ;   in Loop: Header=BB0_158 Depth=2
	flat_load_dword v13, v[4:5]
	s_mov_b32 s15, exec_lo
	s_waitcnt vmcnt(0) lgkmcnt(0)
	v_cmpx_ne_u32_e32 0x101, v13
	s_xor_b32 s15, exec_lo, s15
	s_cbranch_execz .LBB0_161
; %bb.160:                              ;   in Loop: Header=BB0_158 Depth=2
	v_add_nc_u32_e32 v10, 1, v6
	v_lshl_add_u32 v11, v6, 3, 0x3e90
                                        ; implicit-def: $vgpr12
	buffer_store_dword v5, v11, s[0:3], 0 offen offset:4
	buffer_store_dword v4, v11, s[0:3], 0 offen
	v_mov_b32_e32 v6, v10
                                        ; implicit-def: $vgpr4_vgpr5
                                        ; implicit-def: $vgpr10
                                        ; implicit-def: $vgpr11
.LBB0_161:                              ;   in Loop: Header=BB0_158 Depth=2
	s_or_saveexec_b32 s15, s15
	v_mov_b32_e32 v13, v6
	s_xor_b32 exec_lo, exec_lo, s15
	s_cbranch_execz .LBB0_156
; %bb.162:                              ;   in Loop: Header=BB0_158 Depth=2
	flat_load_dwordx4 v[14:17], v[4:5] offset:8
	v_add_nc_u32_e32 v9, 1, v10
	v_mov_b32_e32 v13, v11
	v_lshl_add_u32 v4, v10, 3, 16
	s_waitcnt vmcnt(0) lgkmcnt(0)
	buffer_store_dword v15, v12, s[0:3], 0 offen offset:4
	buffer_store_dword v14, v12, s[0:3], 0 offen
	buffer_store_dword v17, v4, s[0:3], 0 offen offset:4
	buffer_store_dword v16, v4, s[0:3], 0 offen
	s_branch .LBB0_156
.LBB0_163:                              ;   in Loop: Header=BB0_155 Depth=1
	s_or_b32 exec_lo, exec_lo, s11
	global_load_ubyte v9, v7, s[4:5]
	v_mov_b32_e32 v10, 0x3e90
	v_mov_b32_e32 v4, 0x3e90
	s_movk_i32 s14, 0x3e90
	s_mov_b32 s11, exec_lo
	buffer_store_dword v11, v4, s[0:3], 0 offen offset:800
	s_waitcnt vmcnt(0)
	v_cmpx_ne_u16_e32 0, v9
	s_cbranch_execz .LBB0_180
; %bb.164:                              ;   in Loop: Header=BB0_155 Depth=1
	v_add_co_u32 v4, s15, s4, v7
	v_add_co_ci_u32_e64 v5, null, s5, 0, s15
	s_movk_i32 s17, 0x41b8
	s_mov_b32 s15, 0
	s_branch .LBB0_166
.LBB0_165:                              ;   in Loop: Header=BB0_166 Depth=2
	s_or_b32 exec_lo, exec_lo, s17
	global_load_ubyte v9, v[4:5], off offset:1
	v_add_co_u32 v4, vcc_lo, v4, 1
	v_add_co_ci_u32_e64 v5, null, 0, v5, vcc_lo
	v_mov_b32_e32 v10, s16
	s_mov_b32 s17, s14
	s_mov_b32 s14, s16
	s_waitcnt vmcnt(0)
	v_cmp_eq_u16_e32 vcc_lo, 0, v9
	s_or_b32 s15, vcc_lo, s15
	s_andn2_b32 exec_lo, exec_lo, s15
	s_cbranch_execz .LBB0_179
.LBB0_166:                              ;   Parent Loop BB0_155 Depth=1
                                        ; =>  This Loop Header: Depth=2
                                        ;       Child Loop BB0_170 Depth 3
                                        ;         Child Loop BB0_174 Depth 4
	v_mov_b32_e32 v6, s14
	s_mov_b32 s16, s17
	buffer_load_dword v11, v6, s[0:3], 0 offen offset:800
	v_mov_b32_e32 v6, s17
	s_mov_b32 s17, exec_lo
	buffer_store_dword v8, v6, s[0:3], 0 offen offset:800
	s_waitcnt vmcnt(0)
	v_cmpx_lt_i32_e32 0, v11
	s_cbranch_execz .LBB0_165
; %bb.167:                              ;   in Loop: Header=BB0_166 Depth=2
	v_mov_b32_e32 v10, 0
	s_mov_b32 s18, 0
	s_mov_b32 s19, 0
	s_branch .LBB0_170
.LBB0_168:                              ;   in Loop: Header=BB0_170 Depth=3
	s_or_b32 exec_lo, exec_lo, s21
	v_mov_b32_e32 v6, s14
	buffer_load_dword v11, v6, s[0:3], 0 offen offset:800
.LBB0_169:                              ;   in Loop: Header=BB0_170 Depth=3
	s_or_b32 exec_lo, exec_lo, s20
	s_add_i32 s19, s19, 1
	s_waitcnt vmcnt(0)
	v_cmp_ge_i32_e32 vcc_lo, s19, v11
	s_or_b32 s18, vcc_lo, s18
	s_andn2_b32 exec_lo, exec_lo, s18
	s_cbranch_execz .LBB0_165
.LBB0_170:                              ;   Parent Loop BB0_155 Depth=1
                                        ;     Parent Loop BB0_166 Depth=2
                                        ; =>    This Loop Header: Depth=3
                                        ;         Child Loop BB0_174 Depth 4
	s_lshl_b32 s20, s19, 3
	s_add_i32 s20, s14, s20
	v_mov_b32_e32 v7, s20
	s_clause 0x1
	buffer_load_dword v6, v7, s[0:3], 0 offen
	buffer_load_dword v7, v7, s[0:3], 0 offen offset:4
	s_waitcnt vmcnt(0)
	flat_load_dword v12, v[6:7]
	s_waitcnt vmcnt(0) lgkmcnt(0)
	v_cmp_eq_u32_sdwa s20, v12, v9 src0_sel:DWORD src1_sel:BYTE_0
	v_cmp_eq_u32_e32 vcc_lo, 0x102, v12
	s_or_b32 s21, s20, vcc_lo
	s_and_saveexec_b32 s20, s21
	s_cbranch_execz .LBB0_169
; %bb.171:                              ;   in Loop: Header=BB0_170 Depth=3
	flat_load_dwordx2 v[6:7], v[6:7] offset:8
	v_mov_b32_e32 v12, 1
	s_mov_b32 s21, 0
	s_waitcnt vmcnt(0) lgkmcnt(0)
	buffer_store_dword v7, off, s[0:3], 0 offset:20
	buffer_store_dword v6, off, s[0:3], 0 offset:16
	s_branch .LBB0_174
.LBB0_172:                              ;   in Loop: Header=BB0_174 Depth=4
	s_or_b32 exec_lo, exec_lo, s23
.LBB0_173:                              ;   in Loop: Header=BB0_174 Depth=4
	s_or_b32 exec_lo, exec_lo, s22
	v_cmp_eq_u32_e32 vcc_lo, 0, v11
	v_mov_b32_e32 v12, v11
	s_or_b32 s21, vcc_lo, s21
	s_andn2_b32 exec_lo, exec_lo, s21
	s_cbranch_execz .LBB0_168
.LBB0_174:                              ;   Parent Loop BB0_155 Depth=1
                                        ;     Parent Loop BB0_166 Depth=2
                                        ;       Parent Loop BB0_170 Depth=3
                                        ; =>      This Inner Loop Header: Depth=4
	v_add_nc_u32_e32 v11, -1, v12
	s_mov_b32 s22, exec_lo
	v_lshl_add_u32 v13, v11, 3, 16
	s_clause 0x1
	buffer_load_dword v6, v13, s[0:3], 0 offen
	buffer_load_dword v7, v13, s[0:3], 0 offen offset:4
	s_waitcnt vmcnt(0)
	v_cmpx_ne_u64_e32 0, v[6:7]
	s_cbranch_execz .LBB0_173
; %bb.175:                              ;   in Loop: Header=BB0_174 Depth=4
	flat_load_dword v14, v[6:7]
	s_mov_b32 s23, exec_lo
	s_waitcnt vmcnt(0) lgkmcnt(0)
	v_cmpx_ne_u32_e32 0x101, v14
	s_xor_b32 s23, exec_lo, s23
	s_cbranch_execz .LBB0_177
; %bb.176:                              ;   in Loop: Header=BB0_174 Depth=4
	v_add_nc_u32_e32 v12, 1, v10
	v_mov_b32_e32 v13, s16
	v_lshl_add_u32 v14, v10, 3, s16
	buffer_store_dword v12, v13, s[0:3], 0 offen offset:800
	buffer_store_dword v7, v14, s[0:3], 0 offen offset:4
	buffer_store_dword v6, v14, s[0:3], 0 offen
	v_mov_b32_e32 v10, v12
                                        ; implicit-def: $vgpr6_vgpr7
                                        ; implicit-def: $vgpr13
                                        ; implicit-def: $vgpr12
.LBB0_177:                              ;   in Loop: Header=BB0_174 Depth=4
	s_andn2_saveexec_b32 s23, s23
	s_cbranch_execz .LBB0_172
; %bb.178:                              ;   in Loop: Header=BB0_174 Depth=4
	flat_load_dwordx4 v[14:17], v[6:7] offset:8
	v_add_nc_u32_e32 v11, 1, v12
	v_lshl_add_u32 v6, v12, 3, 16
	s_waitcnt vmcnt(0) lgkmcnt(0)
	buffer_store_dword v15, v13, s[0:3], 0 offen offset:4
	buffer_store_dword v14, v13, s[0:3], 0 offen
	buffer_store_dword v17, v6, s[0:3], 0 offen offset:4
	buffer_store_dword v16, v6, s[0:3], 0 offen
	s_branch .LBB0_172
.LBB0_179:                              ;   in Loop: Header=BB0_155 Depth=1
	s_or_b32 exec_lo, exec_lo, s15
	buffer_load_dword v6, v10, s[0:3], 0 offen offset:800
.LBB0_180:                              ;   in Loop: Header=BB0_155 Depth=1
	s_or_b32 exec_lo, exec_lo, s11
	v_mov_b32_e32 v4, 0
	s_mov_b32 s11, exec_lo
	s_waitcnt vmcnt(0)
	v_cmpx_lt_i32_e32 0, v6
	s_cbranch_execz .LBB0_154
; %bb.181:                              ;   in Loop: Header=BB0_155 Depth=1
	s_mov_b32 s14, 0
                                        ; implicit-def: $sgpr15
	s_inst_prefetch 0x1
	s_branch .LBB0_183
	.p2align	6
.LBB0_182:                              ;   in Loop: Header=BB0_183 Depth=2
	s_or_b32 exec_lo, exec_lo, s16
	s_and_b32 s16, exec_lo, s15
	s_or_b32 s14, s16, s14
	s_andn2_b32 exec_lo, exec_lo, s14
	s_cbranch_execz .LBB0_153
.LBB0_183:                              ;   Parent Loop BB0_155 Depth=1
                                        ; =>  This Inner Loop Header: Depth=2
	s_clause 0x1
	buffer_load_dword v4, v10, s[0:3], 0 offen
	buffer_load_dword v5, v10, s[0:3], 0 offen offset:4
	s_or_b32 s15, s15, exec_lo
	s_waitcnt vmcnt(0)
	flat_load_dword v4, v[4:5]
	s_waitcnt vmcnt(0) lgkmcnt(0)
	v_cmp_ne_u32_e32 vcc_lo, 0x100, v4
	v_mov_b32_e32 v4, 1
	s_and_saveexec_b32 s16, vcc_lo
	s_cbranch_execz .LBB0_182
; %bb.184:                              ;   in Loop: Header=BB0_183 Depth=2
	v_add_nc_u32_e32 v6, -1, v6
	v_add_nc_u32_e32 v10, 8, v10
	v_mov_b32_e32 v4, 0
	s_andn2_b32 s15, s15, exec_lo
	v_cmp_eq_u32_e32 vcc_lo, 0, v6
	s_and_b32 s17, vcc_lo, exec_lo
	s_or_b32 s15, s15, s17
	s_branch .LBB0_182
.LBB0_185:
	s_endpgm
	.section	.rodata,"a",@progbits
	.p2align	6, 0x0
	.amdhsa_kernel _Z13parallelMatchPcPKjiS_S1_PhP5State
		.amdhsa_group_segment_fixed_size 12008
		.amdhsa_private_segment_fixed_size 17632
		.amdhsa_kernarg_size 312
		.amdhsa_user_sgpr_count 6
		.amdhsa_user_sgpr_private_segment_buffer 1
		.amdhsa_user_sgpr_dispatch_ptr 0
		.amdhsa_user_sgpr_queue_ptr 0
		.amdhsa_user_sgpr_kernarg_segment_ptr 1
		.amdhsa_user_sgpr_dispatch_id 0
		.amdhsa_user_sgpr_flat_scratch_init 0
		.amdhsa_user_sgpr_private_segment_size 0
		.amdhsa_wavefront_size32 1
		.amdhsa_uses_dynamic_stack 0
		.amdhsa_system_sgpr_private_segment_wavefront_offset 1
		.amdhsa_system_sgpr_workgroup_id_x 1
		.amdhsa_system_sgpr_workgroup_id_y 0
		.amdhsa_system_sgpr_workgroup_id_z 0
		.amdhsa_system_sgpr_workgroup_info 0
		.amdhsa_system_vgpr_workitem_id 0
		.amdhsa_next_free_vgpr 20
		.amdhsa_next_free_sgpr 26
		.amdhsa_reserve_vcc 1
		.amdhsa_reserve_flat_scratch 0
		.amdhsa_float_round_mode_32 0
		.amdhsa_float_round_mode_16_64 0
		.amdhsa_float_denorm_mode_32 3
		.amdhsa_float_denorm_mode_16_64 3
		.amdhsa_dx10_clamp 1
		.amdhsa_ieee_mode 1
		.amdhsa_fp16_overflow 0
		.amdhsa_workgroup_processor_mode 1
		.amdhsa_memory_ordered 1
		.amdhsa_forward_progress 1
		.amdhsa_shared_vgpr_count 0
		.amdhsa_exception_fp_ieee_invalid_op 0
		.amdhsa_exception_fp_denorm_src 0
		.amdhsa_exception_fp_ieee_div_zero 0
		.amdhsa_exception_fp_ieee_overflow 0
		.amdhsa_exception_fp_ieee_underflow 0
		.amdhsa_exception_fp_ieee_inexact 0
		.amdhsa_exception_int_div_zero 0
	.end_amdhsa_kernel
	.text
.Lfunc_end0:
	.size	_Z13parallelMatchPcPKjiS_S1_PhP5State, .Lfunc_end0-_Z13parallelMatchPcPKjiS_S1_PhP5State
                                        ; -- End function
	.set _Z13parallelMatchPcPKjiS_S1_PhP5State.num_vgpr, 20
	.set _Z13parallelMatchPcPKjiS_S1_PhP5State.num_agpr, 0
	.set _Z13parallelMatchPcPKjiS_S1_PhP5State.numbered_sgpr, 26
	.set _Z13parallelMatchPcPKjiS_S1_PhP5State.num_named_barrier, 0
	.set _Z13parallelMatchPcPKjiS_S1_PhP5State.private_seg_size, 17632
	.set _Z13parallelMatchPcPKjiS_S1_PhP5State.uses_vcc, 1
	.set _Z13parallelMatchPcPKjiS_S1_PhP5State.uses_flat_scratch, 0
	.set _Z13parallelMatchPcPKjiS_S1_PhP5State.has_dyn_sized_stack, 0
	.set _Z13parallelMatchPcPKjiS_S1_PhP5State.has_recursion, 0
	.set _Z13parallelMatchPcPKjiS_S1_PhP5State.has_indirect_call, 0
	.section	.AMDGPU.csdata,"",@progbits
; Kernel info:
; codeLenInByte = 5364
; TotalNumSgprs: 28
; NumVgprs: 20
; ScratchSize: 17632
; MemoryBound: 0
; FloatMode: 240
; IeeeMode: 1
; LDSByteSize: 12008 bytes/workgroup (compile time only)
; SGPRBlocks: 0
; VGPRBlocks: 2
; NumSGPRsForWavesPerEU: 28
; NumVGPRsForWavesPerEU: 20
; Occupancy: 16
; WaveLimiterHint : 1
; COMPUTE_PGM_RSRC2:SCRATCH_EN: 1
; COMPUTE_PGM_RSRC2:USER_SGPR: 6
; COMPUTE_PGM_RSRC2:TRAP_HANDLER: 0
; COMPUTE_PGM_RSRC2:TGID_X_EN: 1
; COMPUTE_PGM_RSRC2:TGID_Y_EN: 0
; COMPUTE_PGM_RSRC2:TGID_Z_EN: 0
; COMPUTE_PGM_RSRC2:TIDIG_COMP_CNT: 0
	.text
	.p2alignl 6, 3214868480
	.fill 48, 4, 3214868480
	.section	.AMDGPU.gpr_maximums,"",@progbits
	.set amdgpu.max_num_vgpr, 0
	.set amdgpu.max_num_agpr, 0
	.set amdgpu.max_num_sgpr, 0
	.text
	.type	__hip_cuid_53b1ca0114f9e250,@object ; @__hip_cuid_53b1ca0114f9e250
	.section	.bss,"aw",@nobits
	.globl	__hip_cuid_53b1ca0114f9e250
__hip_cuid_53b1ca0114f9e250:
	.byte	0                               ; 0x0
	.size	__hip_cuid_53b1ca0114f9e250, 1

	.ident	"AMD clang version 22.0.0git (https://github.com/RadeonOpenCompute/llvm-project roc-7.2.4 26084 f58b06dce1f9c15707c5f808fd002e18c2accf7e)"
	.section	".note.GNU-stack","",@progbits
	.addrsig
	.addrsig_sym __hip_cuid_53b1ca0114f9e250
	.amdgpu_metadata
---
amdhsa.kernels:
  - .args:
      - .address_space:  global
        .offset:         0
        .size:           8
        .value_kind:     global_buffer
      - .address_space:  global
        .offset:         8
        .size:           8
        .value_kind:     global_buffer
      - .offset:         16
        .size:           4
        .value_kind:     by_value
      - .address_space:  global
        .offset:         24
        .size:           8
        .value_kind:     global_buffer
      - .address_space:  global
        .offset:         32
        .size:           8
        .value_kind:     global_buffer
      - .address_space:  global
        .offset:         40
        .size:           8
        .value_kind:     global_buffer
      - .address_space:  global
        .offset:         48
        .size:           8
        .value_kind:     global_buffer
      - .offset:         56
        .size:           4
        .value_kind:     hidden_block_count_x
      - .offset:         60
        .size:           4
        .value_kind:     hidden_block_count_y
      - .offset:         64
        .size:           4
        .value_kind:     hidden_block_count_z
      - .offset:         68
        .size:           2
        .value_kind:     hidden_group_size_x
      - .offset:         70
        .size:           2
        .value_kind:     hidden_group_size_y
      - .offset:         72
        .size:           2
        .value_kind:     hidden_group_size_z
      - .offset:         74
        .size:           2
        .value_kind:     hidden_remainder_x
      - .offset:         76
        .size:           2
        .value_kind:     hidden_remainder_y
      - .offset:         78
        .size:           2
        .value_kind:     hidden_remainder_z
      - .offset:         96
        .size:           8
        .value_kind:     hidden_global_offset_x
      - .offset:         104
        .size:           8
        .value_kind:     hidden_global_offset_y
      - .offset:         112
        .size:           8
        .value_kind:     hidden_global_offset_z
      - .offset:         120
        .size:           2
        .value_kind:     hidden_grid_dims
    .group_segment_fixed_size: 12008
    .kernarg_segment_align: 8
    .kernarg_segment_size: 312
    .language:       OpenCL C
    .language_version:
      - 2
      - 0
    .max_flat_workgroup_size: 1024
    .name:           _Z13parallelMatchPcPKjiS_S1_PhP5State
    .private_segment_fixed_size: 17632
    .sgpr_count:     28
    .sgpr_spill_count: 0
    .symbol:         _Z13parallelMatchPcPKjiS_S1_PhP5State.kd
    .uniform_work_group_size: 1
    .uses_dynamic_stack: false
    .vgpr_count:     20
    .vgpr_spill_count: 0
    .wavefront_size: 32
    .workgroup_processor_mode: 1
amdhsa.target:   amdgcn-amd-amdhsa--gfx1030
amdhsa.version:
  - 1
  - 2
...

	.end_amdgpu_metadata
